;; amdgpu-corpus repo=ROCm/rocFFT kind=compiled arch=gfx1030 opt=O3
	.text
	.amdgcn_target "amdgcn-amd-amdhsa--gfx1030"
	.amdhsa_code_object_version 6
	.protected	fft_rtc_back_len1404_factors_2_2_3_13_3_3_wgs_117_tpt_117_halfLds_half_ip_CI_sbrr_dirReg ; -- Begin function fft_rtc_back_len1404_factors_2_2_3_13_3_3_wgs_117_tpt_117_halfLds_half_ip_CI_sbrr_dirReg
	.globl	fft_rtc_back_len1404_factors_2_2_3_13_3_3_wgs_117_tpt_117_halfLds_half_ip_CI_sbrr_dirReg
	.p2align	8
	.type	fft_rtc_back_len1404_factors_2_2_3_13_3_3_wgs_117_tpt_117_halfLds_half_ip_CI_sbrr_dirReg,@function
fft_rtc_back_len1404_factors_2_2_3_13_3_3_wgs_117_tpt_117_halfLds_half_ip_CI_sbrr_dirReg: ; @fft_rtc_back_len1404_factors_2_2_3_13_3_3_wgs_117_tpt_117_halfLds_half_ip_CI_sbrr_dirReg
; %bb.0:
	s_clause 0x2
	s_load_dwordx2 s[14:15], s[4:5], 0x18
	s_load_dwordx4 s[8:11], s[4:5], 0x0
	s_load_dwordx2 s[12:13], s[4:5], 0x50
	v_mul_u32_u24_e32 v1, 0x231, v0
	v_mov_b32_e32 v3, 0
	v_add_nc_u32_sdwa v5, s6, v1 dst_sel:DWORD dst_unused:UNUSED_PAD src0_sel:DWORD src1_sel:WORD_1
	v_mov_b32_e32 v1, 0
	v_mov_b32_e32 v6, v3
	v_mov_b32_e32 v2, 0
	s_waitcnt lgkmcnt(0)
	s_load_dwordx2 s[2:3], s[14:15], 0x0
	v_cmp_lt_u64_e64 s0, s[10:11], 2
	s_and_b32 vcc_lo, exec_lo, s0
	s_cbranch_vccnz .LBB0_8
; %bb.1:
	s_load_dwordx2 s[0:1], s[4:5], 0x10
	v_mov_b32_e32 v1, 0
	s_add_u32 s6, s14, 8
	v_mov_b32_e32 v2, 0
	s_addc_u32 s7, s15, 0
	s_mov_b64 s[18:19], 1
	s_waitcnt lgkmcnt(0)
	s_add_u32 s16, s0, 8
	s_addc_u32 s17, s1, 0
.LBB0_2:                                ; =>This Inner Loop Header: Depth=1
	s_load_dwordx2 s[20:21], s[16:17], 0x0
                                        ; implicit-def: $vgpr7_vgpr8
	s_mov_b32 s0, exec_lo
	s_waitcnt lgkmcnt(0)
	v_or_b32_e32 v4, s21, v6
	v_cmpx_ne_u64_e32 0, v[3:4]
	s_xor_b32 s1, exec_lo, s0
	s_cbranch_execz .LBB0_4
; %bb.3:                                ;   in Loop: Header=BB0_2 Depth=1
	v_cvt_f32_u32_e32 v4, s20
	v_cvt_f32_u32_e32 v7, s21
	s_sub_u32 s0, 0, s20
	s_subb_u32 s22, 0, s21
	v_fmac_f32_e32 v4, 0x4f800000, v7
	v_rcp_f32_e32 v4, v4
	v_mul_f32_e32 v4, 0x5f7ffffc, v4
	v_mul_f32_e32 v7, 0x2f800000, v4
	v_trunc_f32_e32 v7, v7
	v_fmac_f32_e32 v4, 0xcf800000, v7
	v_cvt_u32_f32_e32 v7, v7
	v_cvt_u32_f32_e32 v4, v4
	v_mul_lo_u32 v8, s0, v7
	v_mul_hi_u32 v9, s0, v4
	v_mul_lo_u32 v10, s22, v4
	v_add_nc_u32_e32 v8, v9, v8
	v_mul_lo_u32 v9, s0, v4
	v_add_nc_u32_e32 v8, v8, v10
	v_mul_hi_u32 v10, v4, v9
	v_mul_lo_u32 v11, v4, v8
	v_mul_hi_u32 v12, v4, v8
	v_mul_hi_u32 v13, v7, v9
	v_mul_lo_u32 v9, v7, v9
	v_mul_hi_u32 v14, v7, v8
	v_mul_lo_u32 v8, v7, v8
	v_add_co_u32 v10, vcc_lo, v10, v11
	v_add_co_ci_u32_e32 v11, vcc_lo, 0, v12, vcc_lo
	v_add_co_u32 v9, vcc_lo, v10, v9
	v_add_co_ci_u32_e32 v9, vcc_lo, v11, v13, vcc_lo
	v_add_co_ci_u32_e32 v10, vcc_lo, 0, v14, vcc_lo
	v_add_co_u32 v8, vcc_lo, v9, v8
	v_add_co_ci_u32_e32 v9, vcc_lo, 0, v10, vcc_lo
	v_add_co_u32 v4, vcc_lo, v4, v8
	v_add_co_ci_u32_e32 v7, vcc_lo, v7, v9, vcc_lo
	v_mul_hi_u32 v8, s0, v4
	v_mul_lo_u32 v10, s22, v4
	v_mul_lo_u32 v9, s0, v7
	v_add_nc_u32_e32 v8, v8, v9
	v_mul_lo_u32 v9, s0, v4
	v_add_nc_u32_e32 v8, v8, v10
	v_mul_hi_u32 v10, v4, v9
	v_mul_lo_u32 v11, v4, v8
	v_mul_hi_u32 v12, v4, v8
	v_mul_hi_u32 v13, v7, v9
	v_mul_lo_u32 v9, v7, v9
	v_mul_hi_u32 v14, v7, v8
	v_mul_lo_u32 v8, v7, v8
	v_add_co_u32 v10, vcc_lo, v10, v11
	v_add_co_ci_u32_e32 v11, vcc_lo, 0, v12, vcc_lo
	v_add_co_u32 v9, vcc_lo, v10, v9
	v_add_co_ci_u32_e32 v9, vcc_lo, v11, v13, vcc_lo
	v_add_co_ci_u32_e32 v10, vcc_lo, 0, v14, vcc_lo
	v_add_co_u32 v8, vcc_lo, v9, v8
	v_add_co_ci_u32_e32 v9, vcc_lo, 0, v10, vcc_lo
	v_add_co_u32 v4, vcc_lo, v4, v8
	v_add_co_ci_u32_e32 v11, vcc_lo, v7, v9, vcc_lo
	v_mul_hi_u32 v13, v5, v4
	v_mad_u64_u32 v[9:10], null, v6, v4, 0
	v_mad_u64_u32 v[7:8], null, v5, v11, 0
	;; [unrolled: 1-line block ×3, first 2 shown]
	v_add_co_u32 v4, vcc_lo, v13, v7
	v_add_co_ci_u32_e32 v7, vcc_lo, 0, v8, vcc_lo
	v_add_co_u32 v4, vcc_lo, v4, v9
	v_add_co_ci_u32_e32 v4, vcc_lo, v7, v10, vcc_lo
	v_add_co_ci_u32_e32 v7, vcc_lo, 0, v12, vcc_lo
	v_add_co_u32 v4, vcc_lo, v4, v11
	v_add_co_ci_u32_e32 v9, vcc_lo, 0, v7, vcc_lo
	v_mul_lo_u32 v10, s21, v4
	v_mad_u64_u32 v[7:8], null, s20, v4, 0
	v_mul_lo_u32 v11, s20, v9
	v_sub_co_u32 v7, vcc_lo, v5, v7
	v_add3_u32 v8, v8, v11, v10
	v_sub_nc_u32_e32 v10, v6, v8
	v_subrev_co_ci_u32_e64 v10, s0, s21, v10, vcc_lo
	v_add_co_u32 v11, s0, v4, 2
	v_add_co_ci_u32_e64 v12, s0, 0, v9, s0
	v_sub_co_u32 v13, s0, v7, s20
	v_sub_co_ci_u32_e32 v8, vcc_lo, v6, v8, vcc_lo
	v_subrev_co_ci_u32_e64 v10, s0, 0, v10, s0
	v_cmp_le_u32_e32 vcc_lo, s20, v13
	v_cmp_eq_u32_e64 s0, s21, v8
	v_cndmask_b32_e64 v13, 0, -1, vcc_lo
	v_cmp_le_u32_e32 vcc_lo, s21, v10
	v_cndmask_b32_e64 v14, 0, -1, vcc_lo
	v_cmp_le_u32_e32 vcc_lo, s20, v7
	;; [unrolled: 2-line block ×3, first 2 shown]
	v_cndmask_b32_e64 v15, 0, -1, vcc_lo
	v_cmp_eq_u32_e32 vcc_lo, s21, v10
	v_cndmask_b32_e64 v7, v15, v7, s0
	v_cndmask_b32_e32 v10, v14, v13, vcc_lo
	v_add_co_u32 v13, vcc_lo, v4, 1
	v_add_co_ci_u32_e32 v14, vcc_lo, 0, v9, vcc_lo
	v_cmp_ne_u32_e32 vcc_lo, 0, v10
	v_cndmask_b32_e32 v8, v14, v12, vcc_lo
	v_cndmask_b32_e32 v10, v13, v11, vcc_lo
	v_cmp_ne_u32_e32 vcc_lo, 0, v7
	v_cndmask_b32_e32 v8, v9, v8, vcc_lo
	v_cndmask_b32_e32 v7, v4, v10, vcc_lo
.LBB0_4:                                ;   in Loop: Header=BB0_2 Depth=1
	s_andn2_saveexec_b32 s0, s1
	s_cbranch_execz .LBB0_6
; %bb.5:                                ;   in Loop: Header=BB0_2 Depth=1
	v_cvt_f32_u32_e32 v4, s20
	s_sub_i32 s1, 0, s20
	v_rcp_iflag_f32_e32 v4, v4
	v_mul_f32_e32 v4, 0x4f7ffffe, v4
	v_cvt_u32_f32_e32 v4, v4
	v_mul_lo_u32 v7, s1, v4
	v_mul_hi_u32 v7, v4, v7
	v_add_nc_u32_e32 v4, v4, v7
	v_mul_hi_u32 v4, v5, v4
	v_mul_lo_u32 v7, v4, s20
	v_add_nc_u32_e32 v8, 1, v4
	v_sub_nc_u32_e32 v7, v5, v7
	v_subrev_nc_u32_e32 v9, s20, v7
	v_cmp_le_u32_e32 vcc_lo, s20, v7
	v_cndmask_b32_e32 v7, v7, v9, vcc_lo
	v_cndmask_b32_e32 v4, v4, v8, vcc_lo
	v_cmp_le_u32_e32 vcc_lo, s20, v7
	v_add_nc_u32_e32 v8, 1, v4
	v_cndmask_b32_e32 v7, v4, v8, vcc_lo
	v_mov_b32_e32 v8, v3
.LBB0_6:                                ;   in Loop: Header=BB0_2 Depth=1
	s_or_b32 exec_lo, exec_lo, s0
	s_load_dwordx2 s[0:1], s[6:7], 0x0
	v_mul_lo_u32 v4, v8, s20
	v_mul_lo_u32 v11, v7, s21
	v_mad_u64_u32 v[9:10], null, v7, s20, 0
	s_add_u32 s18, s18, 1
	s_addc_u32 s19, s19, 0
	s_add_u32 s6, s6, 8
	s_addc_u32 s7, s7, 0
	;; [unrolled: 2-line block ×3, first 2 shown]
	v_add3_u32 v4, v10, v11, v4
	v_sub_co_u32 v5, vcc_lo, v5, v9
	v_sub_co_ci_u32_e32 v4, vcc_lo, v6, v4, vcc_lo
	s_waitcnt lgkmcnt(0)
	v_mul_lo_u32 v6, s1, v5
	v_mul_lo_u32 v4, s0, v4
	v_mad_u64_u32 v[1:2], null, s0, v5, v[1:2]
	v_cmp_ge_u64_e64 s0, s[18:19], s[10:11]
	s_and_b32 vcc_lo, exec_lo, s0
	v_add3_u32 v2, v6, v2, v4
	s_cbranch_vccnz .LBB0_9
; %bb.7:                                ;   in Loop: Header=BB0_2 Depth=1
	v_mov_b32_e32 v5, v7
	v_mov_b32_e32 v6, v8
	s_branch .LBB0_2
.LBB0_8:
	v_mov_b32_e32 v8, v6
	v_mov_b32_e32 v7, v5
.LBB0_9:
	s_lshl_b64 s[0:1], s[10:11], 3
	v_mul_hi_u32 v3, 0x2302303, v0
	s_add_u32 s0, s14, s0
	s_addc_u32 s1, s15, s1
	s_load_dwordx2 s[4:5], s[4:5], 0x20
	s_load_dwordx2 s[0:1], s[0:1], 0x0
                                        ; implicit-def: $vgpr9
                                        ; implicit-def: $vgpr5
                                        ; implicit-def: $vgpr19
                                        ; implicit-def: $vgpr27
	v_mul_u32_u24_e32 v3, 0x75, v3
	v_sub_nc_u32_e32 v13, v0, v3
	v_add_nc_u32_e32 v14, 0x75, v13
	v_add_nc_u32_e32 v11, 0xea, v13
	;; [unrolled: 1-line block ×5, first 2 shown]
	s_waitcnt lgkmcnt(0)
	v_cmp_gt_u64_e32 vcc_lo, s[4:5], v[7:8]
	v_mul_lo_u32 v3, s0, v8
	v_mul_lo_u32 v4, s1, v7
	v_mad_u64_u32 v[0:1], null, s0, v7, v[1:2]
	v_cmp_le_u64_e64 s0, s[4:5], v[7:8]
                                        ; implicit-def: $sgpr4
                                        ; implicit-def: $vgpr7
	v_add3_u32 v1, v4, v1, v3
	s_and_saveexec_b32 s1, s0
	s_xor_b32 s0, exec_lo, s1
; %bb.10:
	v_add_nc_u32_e32 v9, 0x75, v13
	v_add_nc_u32_e32 v7, 0xea, v13
	;; [unrolled: 1-line block ×5, first 2 shown]
	s_mov_b32 s4, 0
; %bb.11:
	s_or_saveexec_b32 s1, s0
	v_lshlrev_b64 v[0:1], 2, v[0:1]
	v_mov_b32_e32 v2, s4
	v_add_nc_u32_e32 v18, 0x3a8, v13
	v_add_nc_u32_e32 v17, 0x41d, v13
	v_mov_b32_e32 v25, s4
	v_mov_b32_e32 v24, s4
	;; [unrolled: 1-line block ×5, first 2 shown]
                                        ; implicit-def: $vgpr30
                                        ; implicit-def: $vgpr3
                                        ; implicit-def: $vgpr32
                                        ; implicit-def: $vgpr4
                                        ; implicit-def: $vgpr31
                                        ; implicit-def: $vgpr6
                                        ; implicit-def: $vgpr29
                                        ; implicit-def: $vgpr21
                                        ; implicit-def: $vgpr26
                                        ; implicit-def: $vgpr22
                                        ; implicit-def: $vgpr28
                                        ; implicit-def: $vgpr23
	s_xor_b32 exec_lo, exec_lo, s1
	s_cbranch_execz .LBB0_13
; %bb.12:
	v_add_nc_u32_e32 v19, 0x2be, v13
	v_mad_u64_u32 v[2:3], null, s2, v13, 0
	v_mad_u64_u32 v[6:7], null, s2, v14, 0
	;; [unrolled: 1-line block ×3, first 2 shown]
	v_add_nc_u32_e32 v22, 0x333, v13
	v_add_co_u32 v38, s0, s12, v0
	v_add_co_ci_u32_e64 v39, s0, s13, v1, s0
	v_mad_u64_u32 v[25:26], null, s2, v12, 0
	v_mad_u64_u32 v[8:9], null, s3, v13, v[3:4]
	;; [unrolled: 1-line block ×5, first 2 shown]
	v_mov_b32_e32 v3, v8
	v_mad_u64_u32 v[27:28], null, s2, v17, 0
	v_mov_b32_e32 v5, v19
	v_mov_b32_e32 v8, v10
	v_lshlrev_b64 v[2:3], 2, v[2:3]
	v_add_nc_u32_e32 v33, 0x492, v13
	v_add_nc_u32_e32 v35, 0x507, v13
	v_lshlrev_b64 v[4:5], 2, v[4:5]
	v_mad_u64_u32 v[22:23], null, s3, v22, v[8:9]
	v_add_co_u32 v2, s0, v38, v2
	v_mad_u64_u32 v[7:8], null, s3, v14, v[7:8]
	v_mad_u64_u32 v[23:24], null, s2, v18, 0
	v_add_co_ci_u32_e64 v3, s0, v39, v3, s0
	v_add_co_u32 v4, s0, v38, v4
	v_add_co_ci_u32_e64 v5, s0, v39, v5, s0
	v_mov_b32_e32 v10, v22
	s_clause 0x1
	global_load_dword v2, v[2:3], off
	global_load_dword v3, v[4:5], off
	v_mov_b32_e32 v4, v21
	v_mov_b32_e32 v5, v24
	v_lshlrev_b64 v[6:7], 2, v[6:7]
	v_lshlrev_b64 v[8:9], 2, v[9:10]
	v_mad_u64_u32 v[21:22], null, s3, v11, v[4:5]
	v_mad_u64_u32 v[4:5], null, s3, v18, v[5:6]
	v_add_co_u32 v8, s0, v38, v8
	v_add_co_ci_u32_e64 v9, s0, v39, v9, s0
	v_add_co_u32 v29, s0, v38, v6
	v_add_co_ci_u32_e64 v30, s0, v39, v7, s0
	v_lshlrev_b64 v[6:7], 2, v[20:21]
	v_mov_b32_e32 v24, v4
	v_mov_b32_e32 v5, v26
	global_load_dword v4, v[8:9], off
	v_lshlrev_b64 v[8:9], 2, v[23:24]
	v_mad_u64_u32 v[19:20], null, s3, v12, v[5:6]
	v_mov_b32_e32 v5, v28
	v_add_co_u32 v31, s0, v38, v6
	v_add_co_ci_u32_e64 v32, s0, v39, v7, s0
	v_mad_u64_u32 v[5:6], null, s3, v17, v[5:6]
	v_add_co_u32 v6, s0, v38, v8
	v_add_co_ci_u32_e64 v7, s0, v39, v9, s0
	v_mov_b32_e32 v26, v19
	v_mad_u64_u32 v[8:9], null, s2, v16, 0
	global_load_dword v6, v[6:7], off
	v_mad_u64_u32 v[19:20], null, s2, v33, 0
	v_lshlrev_b64 v[21:22], 2, v[25:26]
	v_mad_u64_u32 v[25:26], null, s2, v35, 0
	v_mov_b32_e32 v28, v5
	v_mov_b32_e32 v5, v9
	;; [unrolled: 1-line block ×3, first 2 shown]
	v_lshlrev_b64 v[23:24], 2, v[27:28]
	v_mad_u64_u32 v[27:28], null, s2, v15, 0
	v_mad_u64_u32 v[33:34], null, s3, v33, v[7:8]
	v_add_co_u32 v23, s0, v38, v23
	v_add_co_ci_u32_e64 v24, s0, v39, v24, s0
	v_mov_b32_e32 v7, v28
	v_mov_b32_e32 v20, v33
	v_lshlrev_b64 v[19:20], 2, v[19:20]
	s_waitcnt vmcnt(0)
	v_mad_u64_u32 v[9:10], null, s3, v16, v[5:6]
	v_mov_b32_e32 v5, v26
	v_mad_u64_u32 v[34:35], null, s3, v35, v[5:6]
	v_mad_u64_u32 v[35:36], null, s3, v15, v[7:8]
	v_add_co_u32 v36, s0, v38, v21
	v_lshlrev_b64 v[7:8], 2, v[8:9]
	v_add_co_ci_u32_e64 v37, s0, v39, v22, s0
	v_mov_b32_e32 v26, v34
	v_mov_b32_e32 v28, v35
	v_add_co_u32 v19, s0, v38, v19
	v_add_co_ci_u32_e64 v20, s0, v39, v20, s0
	v_lshlrev_b64 v[9:10], 2, v[25:26]
	global_load_dword v21, v[23:24], off
	v_lshlrev_b64 v[24:25], 2, v[27:28]
	v_mov_b32_e32 v27, v15
	v_mov_b32_e32 v5, v12
	v_add_co_u32 v9, s0, v38, v9
	v_add_co_ci_u32_e64 v10, s0, v39, v10, s0
	v_add_co_u32 v7, s0, v38, v7
	v_add_co_ci_u32_e64 v8, s0, v39, v8, s0
	s_clause 0x1
	global_load_dword v22, v[19:20], off
	global_load_dword v23, v[9:10], off
	v_add_co_u32 v9, s0, v38, v24
	v_add_co_ci_u32_e64 v10, s0, v39, v25, s0
	s_clause 0x4
	global_load_dword v25, v[29:30], off
	global_load_dword v24, v[31:32], off
	;; [unrolled: 1-line block ×5, first 2 shown]
	v_mov_b32_e32 v19, v16
	v_mov_b32_e32 v7, v11
	v_lshrrev_b32_e32 v30, 16, v3
	v_lshrrev_b32_e32 v32, 16, v4
	;; [unrolled: 1-line block ×3, first 2 shown]
	v_mov_b32_e32 v9, v14
	s_waitcnt vmcnt(7)
	v_lshrrev_b32_e32 v29, 16, v21
	s_waitcnt vmcnt(6)
	v_lshrrev_b32_e32 v26, 16, v22
	;; [unrolled: 2-line block ×3, first 2 shown]
.LBB0_13:
	s_or_b32 exec_lo, exec_lo, s1
	v_sub_f16_e32 v3, v2, v3
	v_lshrrev_b32_e32 v33, 16, v2
	s_waitcnt vmcnt(4)
	v_sub_f16_e32 v4, v25, v4
	s_waitcnt vmcnt(3)
	v_sub_f16_e32 v6, v24, v6
	v_lshrrev_b32_e32 v34, 16, v25
	v_fma_f16 v36, v2, 2.0, -v3
	s_waitcnt vmcnt(2)
	v_lshrrev_b32_e32 v2, 16, v20
	v_lshrrev_b32_e32 v35, 16, v24
	v_sub_f16_e32 v30, v33, v30
	v_fma_f16 v25, v25, 2.0, -v4
	v_fma_f16 v24, v24, 2.0, -v6
	v_sub_f16_e32 v21, v20, v21
	s_waitcnt vmcnt(1)
	v_lshrrev_b32_e32 v37, 16, v8
	v_sub_f16_e32 v29, v2, v29
	v_sub_f16_e32 v22, v8, v22
	s_waitcnt vmcnt(0)
	v_sub_f16_e32 v23, v10, v23
	v_lshrrev_b32_e32 v38, 16, v10
	v_sub_f16_e32 v32, v34, v32
	v_fma_f16 v33, v33, 2.0, -v30
	v_sub_f16_e32 v31, v35, v31
	v_fma_f16 v39, v20, 2.0, -v21
	;; [unrolled: 2-line block ×3, first 2 shown]
	v_fma_f16 v26, v8, 2.0, -v22
	v_fma_f16 v42, v10, 2.0, -v23
	v_lshlrev_b32_e32 v2, 1, v13
	v_lshl_add_u32 v43, v13, 2, 0
	v_pack_b32_f16 v8, v36, v3
	v_lshl_add_u32 v3, v9, 2, 0
	v_pack_b32_f16 v20, v25, v4
	;; [unrolled: 2-line block ×3, first 2 shown]
	v_sub_f16_e32 v28, v38, v28
	v_fma_f16 v34, v34, 2.0, -v32
	v_fma_f16 v35, v35, 2.0, -v31
	ds_write_b32 v43, v8
	v_lshlrev_b32_e32 v4, 1, v9
	ds_write_b32 v3, v20
	v_lshlrev_b32_e32 v6, 1, v7
	;; [unrolled: 2-line block ×3, first 2 shown]
	v_lshl_add_u32 v20, v5, 2, 0
	v_pack_b32_f16 v24, v39, v21
	v_lshl_add_u32 v21, v19, 2, 0
	v_pack_b32_f16 v25, v26, v22
	;; [unrolled: 2-line block ×3, first 2 shown]
	v_lshlrev_b32_e32 v22, 1, v19
	v_lshlrev_b32_e32 v39, 1, v27
	v_sub_nc_u32_e32 v19, v43, v2
	v_pack_b32_f16 v30, v33, v30
	v_fma_f16 v37, v37, 2.0, -v40
	v_fma_f16 v38, v38, 2.0, -v28
	ds_write_b32 v20, v24
	ds_write_b32 v21, v25
	;; [unrolled: 1-line block ×3, first 2 shown]
	s_waitcnt lgkmcnt(0)
	s_barrier
	buffer_gl0_inv
	v_sub_nc_u32_e32 v23, v3, v4
	v_sub_nc_u32_e32 v24, v10, v6
	;; [unrolled: 1-line block ×5, first 2 shown]
	ds_read_u16 v44, v19
	ds_read_u16 v45, v19 offset:1404
	ds_read_u16 v46, v19 offset:1638
	;; [unrolled: 1-line block ×5, first 2 shown]
	ds_read_u16 v50, v24
	ds_read_u16 v51, v25
	;; [unrolled: 1-line block ×5, first 2 shown]
	ds_read_u16 v55, v19 offset:2574
	s_waitcnt lgkmcnt(0)
	s_barrier
	v_pack_b32_f16 v32, v34, v32
	buffer_gl0_inv
	ds_write_b32 v43, v30
	v_pack_b32_f16 v30, v35, v31
	v_pack_b32_f16 v29, v41, v29
	;; [unrolled: 1-line block ×4, first 2 shown]
	ds_write_b32 v3, v32
	ds_write_b32 v10, v30
	;; [unrolled: 1-line block ×3, first 2 shown]
	v_and_b32_e32 v29, 1, v9
	ds_write_b32 v21, v31
	ds_write_b32 v36, v28
	v_and_b32_e32 v28, 1, v5
	v_and_b32_e32 v27, 1, v27
	;; [unrolled: 1-line block ×3, first 2 shown]
	v_lshlrev_b32_e32 v30, 2, v29
	s_waitcnt lgkmcnt(0)
	v_lshlrev_b32_e32 v32, 2, v28
	v_lshlrev_b32_e32 v33, 2, v27
	;; [unrolled: 1-line block ×3, first 2 shown]
	s_barrier
	buffer_gl0_inv
	s_clause 0x3
	global_load_dword v30, v30, s[8:9]
	global_load_dword v32, v32, s[8:9]
	;; [unrolled: 1-line block ×4, first 2 shown]
	v_and_or_b32 v29, 0x1fc, v4, v29
	ds_read_u16 v41, v19
	ds_read_u16 v43, v19 offset:1404
	ds_read_u16 v56, v19 offset:1638
	;; [unrolled: 1-line block ×4, first 2 shown]
	v_and_or_b32 v38, 0xfc, v2, v31
	v_and_or_b32 v40, 0x3fc, v6, v31
	;; [unrolled: 1-line block ×3, first 2 shown]
	v_lshl_add_u32 v60, v29, 1, 0
	ds_read_u16 v29, v19 offset:2340
	ds_read_u16 v61, v23
	ds_read_u16 v62, v19 offset:2574
	ds_read_u16 v63, v24
	ds_read_u16 v64, v25
	;; [unrolled: 1-line block ×4, first 2 shown]
	v_and_or_b32 v28, 0x3fc, v8, v28
	v_and_or_b32 v31, 0x7fc, v22, v31
	v_lshl_add_u32 v38, v38, 1, 0
	v_and_b32_e32 v35, 3, v13
	v_and_b32_e32 v36, 3, v9
	;; [unrolled: 1-line block ×3, first 2 shown]
	v_lshl_add_u32 v40, v40, 1, 0
	v_lshl_add_u32 v27, v27, 1, 0
	;; [unrolled: 1-line block ×4, first 2 shown]
	s_waitcnt vmcnt(0) lgkmcnt(0)
	s_barrier
	buffer_gl0_inv
	v_lshlrev_b32_e32 v39, 3, v35
	v_lshlrev_b32_e32 v59, 3, v36
	v_cmp_gt_u32_e64 s0, 0x6c, v13
	v_mul_f16_sdwa v66, v56, v30 dst_sel:DWORD dst_unused:UNUSED_PAD src0_sel:DWORD src1_sel:WORD_1
	v_mul_f16_sdwa v67, v46, v30 dst_sel:DWORD dst_unused:UNUSED_PAD src0_sel:DWORD src1_sel:WORD_1
	;; [unrolled: 1-line block ×12, first 2 shown]
	v_fma_f16 v43, v43, v34, -v71
	v_fmac_f16_e32 v70, v45, v34
	v_fmac_f16_e32 v66, v46, v30
	v_fma_f16 v30, v56, v30, -v67
	v_fmac_f16_e32 v68, v48, v32
	v_fmac_f16_e32 v72, v47, v34
	v_fma_f16 v45, v57, v34, -v73
	v_fma_f16 v32, v58, v32, -v69
	v_fmac_f16_e32 v74, v49, v34
	v_fma_f16 v29, v29, v34, -v75
	v_fmac_f16_e32 v76, v55, v33
	v_fma_f16 v33, v62, v33, -v77
	v_sub_f16_e32 v43, v41, v43
	v_sub_f16_e32 v34, v44, v70
	;; [unrolled: 1-line block ×12, first 2 shown]
	v_fma_f16 v41, v41, 2.0, -v43
	v_fma_f16 v33, v44, 2.0, -v34
	;; [unrolled: 1-line block ×12, first 2 shown]
	ds_write_b16 v38, v34 offset:4
	ds_write_b16 v38, v33
	ds_write_b16 v60, v44
	ds_write_b16 v60, v46 offset:4
	ds_write_b16 v40, v50
	ds_write_b16 v40, v30 offset:4
	;; [unrolled: 2-line block ×5, first 2 shown]
	s_waitcnt lgkmcnt(0)
	s_barrier
	buffer_gl0_inv
	ds_read_u16 v29, v23
	ds_read_u16 v33, v24
	;; [unrolled: 1-line block ×3, first 2 shown]
	ds_read_u16 v48, v19 offset:1170
	ds_read_u16 v51, v19 offset:1404
	ds_read_u16 v62, v26
	ds_read_u16 v34, v25
	ds_read_u16 v63, v19 offset:2340
	ds_read_u16 v64, v19 offset:2574
	;; [unrolled: 1-line block ×5, first 2 shown]
	s_waitcnt lgkmcnt(0)
	s_barrier
	buffer_gl0_inv
	ds_write_b16 v38, v41
	ds_write_b16 v38, v43 offset:4
	ds_write_b16 v60, v54
	ds_write_b16 v60, v47 offset:4
	;; [unrolled: 2-line block ×6, first 2 shown]
	v_and_b32_e32 v27, 3, v5
	v_lshlrev_b32_e32 v28, 3, v37
	s_waitcnt lgkmcnt(0)
	s_barrier
	buffer_gl0_inv
	v_lshlrev_b32_e32 v31, 3, v27
	s_clause 0x3
	global_load_dwordx2 v[39:40], v39, s[8:9] offset:8
	global_load_dwordx2 v[44:45], v59, s[8:9] offset:8
	;; [unrolled: 1-line block ×4, first 2 shown]
	v_lshrrev_b32_e32 v28, 2, v9
	ds_read_u16 v54, v26
	v_lshrrev_b32_e32 v38, 2, v5
	v_lshrrev_b32_e32 v32, 2, v13
	;; [unrolled: 1-line block ×3, first 2 shown]
	v_mul_lo_u32 v28, v28, 12
	v_mul_lo_u32 v38, v38, 12
	v_mul_u32_u24_e32 v32, 12, v32
	v_mul_lo_u32 v31, v31, 12
	v_or_b32_e32 v28, v28, v36
	ds_read_u16 v55, v19 offset:1872
	ds_read_u16 v36, v19
	ds_read_u16 v56, v19 offset:1170
	ds_read_u16 v57, v19 offset:2106
	;; [unrolled: 1-line block ×6, first 2 shown]
	v_or_b32_e32 v32, v32, v35
	v_or_b32_e32 v35, v38, v27
	;; [unrolled: 1-line block ×3, first 2 shown]
	v_lshl_add_u32 v27, v28, 1, 0
	ds_read_u16 v43, v23
	ds_read_u16 v37, v24
	;; [unrolled: 1-line block ×3, first 2 shown]
	v_lshl_add_u32 v26, v32, 1, 0
	v_lshl_add_u32 v32, v35, 1, 0
	;; [unrolled: 1-line block ×3, first 2 shown]
	s_waitcnt vmcnt(0) lgkmcnt(0)
	s_barrier
	buffer_gl0_inv
	v_mul_f16_sdwa v52, v54, v39 dst_sel:DWORD dst_unused:UNUSED_PAD src0_sel:DWORD src1_sel:WORD_1
	v_mul_f16_sdwa v53, v55, v40 dst_sel:DWORD dst_unused:UNUSED_PAD src0_sel:DWORD src1_sel:WORD_1
	;; [unrolled: 1-line block ×16, first 2 shown]
	v_fmac_f16_e32 v52, v62, v39
	v_fmac_f16_e32 v53, v66, v40
	;; [unrolled: 1-line block ×8, first 2 shown]
	v_fma_f16 v59, v54, v39, -v25
	v_fma_f16 v54, v55, v40, -v58
	;; [unrolled: 1-line block ×8, first 2 shown]
	v_add_f16_e32 v44, v52, v53
	v_add_f16_e32 v49, v28, v41
	;; [unrolled: 1-line block ×5, first 2 shown]
	v_sub_f16_e32 v47, v59, v54
	v_add_f16_e32 v45, v29, v28
	v_sub_f16_e32 v50, v58, v57
	v_add_f16_e32 v51, v33, v23
	;; [unrolled: 2-line block ×3, first 2 shown]
	v_sub_f16_e32 v63, v56, v40
	v_fmac_f16_e32 v30, -0.5, v44
	v_fmac_f16_e32 v29, -0.5, v49
	;; [unrolled: 1-line block ×4, first 2 shown]
	v_add_f16_e32 v25, v25, v53
	v_add_f16_e32 v46, v45, v41
	;; [unrolled: 1-line block ×4, first 2 shown]
	v_fmamk_f16 v51, v47, 0xbaee, v30
	v_fmac_f16_e32 v30, 0x3aee, v47
	v_fmamk_f16 v47, v50, 0xbaee, v29
	v_fmac_f16_e32 v29, 0x3aee, v50
	;; [unrolled: 2-line block ×4, first 2 shown]
	ds_write_b16 v26, v25
	ds_write_b16 v26, v51 offset:8
	ds_write_b16 v26, v30 offset:16
	ds_write_b16 v27, v46
	ds_write_b16 v27, v47 offset:8
	ds_write_b16 v27, v29 offset:16
	;; [unrolled: 3-line block ×4, first 2 shown]
	s_waitcnt lgkmcnt(0)
	s_barrier
	buffer_gl0_inv
                                        ; implicit-def: $vgpr55
	s_and_saveexec_b32 s1, s0
	s_cbranch_execz .LBB0_15
; %bb.14:
	ds_read_u16 v25, v19
	ds_read_u16 v51, v19 offset:216
	ds_read_u16 v30, v19 offset:432
	;; [unrolled: 1-line block ×12, first 2 shown]
.LBB0_15:
	s_or_b32 exec_lo, exec_lo, s1
	v_add_f16_e32 v60, v59, v54
	v_sub_f16_e32 v52, v52, v53
	v_add_f16_e32 v53, v58, v57
	v_add_f16_e32 v59, v36, v59
	;; [unrolled: 1-line block ×3, first 2 shown]
	v_fmac_f16_e32 v36, -0.5, v60
	v_sub_f16_e32 v41, v28, v41
	v_fmac_f16_e32 v43, -0.5, v53
	v_add_f16_e32 v28, v59, v54
	v_add_f16_e32 v53, v58, v57
	v_fmamk_f16 v54, v52, 0x3aee, v36
	v_fmac_f16_e32 v36, 0xbaee, v52
	v_add_f16_e32 v52, v48, v39
	v_fmamk_f16 v57, v41, 0x3aee, v43
	v_fmac_f16_e32 v43, 0xbaee, v41
	v_add_f16_e32 v41, v56, v40
	v_add_f16_e32 v48, v37, v48
	v_fmac_f16_e32 v37, -0.5, v52
	v_sub_f16_e32 v23, v23, v35
	v_add_f16_e32 v35, v42, v56
	v_fmac_f16_e32 v42, -0.5, v41
	v_sub_f16_e32 v24, v24, v38
	v_add_f16_e32 v66, v48, v39
	v_fmamk_f16 v65, v23, 0x3aee, v37
	v_fmac_f16_e32 v37, 0xbaee, v23
	v_add_f16_e32 v63, v35, v40
	v_fmamk_f16 v64, v24, 0x3aee, v42
	v_fmac_f16_e32 v42, 0xbaee, v24
	s_waitcnt lgkmcnt(0)
	s_barrier
	buffer_gl0_inv
	ds_write_b16 v26, v28
	ds_write_b16 v26, v54 offset:8
	ds_write_b16 v26, v36 offset:16
	ds_write_b16 v27, v53
	ds_write_b16 v27, v57 offset:8
	ds_write_b16 v27, v43 offset:16
	;; [unrolled: 3-line block ×4, first 2 shown]
	s_waitcnt lgkmcnt(0)
	s_barrier
	buffer_gl0_inv
                                        ; implicit-def: $vgpr67
	s_and_saveexec_b32 s1, s0
	s_cbranch_execz .LBB0_17
; %bb.16:
	ds_read_u16 v28, v19
	ds_read_u16 v54, v19 offset:216
	ds_read_u16 v36, v19 offset:432
	;; [unrolled: 1-line block ×12, first 2 shown]
.LBB0_17:
	s_or_b32 exec_lo, exec_lo, s1
	v_and_b32_e32 v23, 0xff, v13
	v_mov_b32_e32 v26, 12
	v_sub_nc_u32_e32 v41, 0, v4
	v_sub_nc_u32_e32 v38, 0, v6
	;; [unrolled: 1-line block ×3, first 2 shown]
	v_mul_lo_u16 v23, 0xab, v23
	v_sub_nc_u32_e32 v22, 0, v22
	v_lshrrev_b16 v23, 11, v23
	v_mul_lo_u16 v24, v23, 12
	v_sub_nc_u16 v24, v13, v24
	v_mul_u32_u24_sdwa v26, v24, v26 dst_sel:DWORD dst_unused:UNUSED_PAD src0_sel:BYTE_0 src1_sel:DWORD
	v_lshlrev_b32_e32 v26, 2, v26
	s_clause 0x2
	global_load_dwordx4 v[68:71], v26, s[8:9] offset:40
	global_load_dwordx4 v[72:75], v26, s[8:9] offset:56
	;; [unrolled: 1-line block ×3, first 2 shown]
	s_waitcnt vmcnt(0) lgkmcnt(0)
	s_barrier
	buffer_gl0_inv
	v_mul_f16_sdwa v59, v54, v68 dst_sel:DWORD dst_unused:UNUSED_PAD src0_sel:DWORD src1_sel:WORD_1
	v_mul_f16_sdwa v60, v51, v68 dst_sel:DWORD dst_unused:UNUSED_PAD src0_sel:DWORD src1_sel:WORD_1
	;; [unrolled: 1-line block ×24, first 2 shown]
	v_fmac_f16_e32 v59, v51, v68
	v_fma_f16 v62, v54, v68, -v60
	v_fmac_f16_e32 v56, v30, v69
	v_fma_f16 v60, v36, v69, -v80
	;; [unrolled: 2-line block ×12, first 2 shown]
	s_and_saveexec_b32 s1, s0
	s_cbranch_execz .LBB0_19
; %bb.18:
	v_sub_f16_e32 v42, v62, v55
	v_add_f16_e32 v34, v59, v61
	v_sub_f16_e32 v44, v60, v57
	v_add_f16_e32 v43, v56, v58
	v_sub_f16_e32 v46, v53, v54
	v_mul_f16_e32 v67, 0xb3a8, v42
	v_add_f16_e32 v45, v48, v52
	v_mul_f16_e32 v68, 0x3770, v44
	v_sub_f16_e32 v51, v47, v49
	v_mul_f16_e32 v69, 0xb94e, v46
	v_fma_f16 v76, v34, 0xbbc4, -v67
	v_fmac_f16_e32 v67, 0xbbc4, v34
	v_fma_f16 v77, v43, 0x3b15, -v68
	v_mul_f16_e32 v73, 0xb94e, v42
	v_fma_f16 v78, v45, 0xb9fd, -v69
	v_add_f16_e32 v76, v25, v76
	v_fmac_f16_e32 v68, 0x3b15, v43
	v_add_f16_e32 v67, v25, v67
	v_add_f16_e32 v50, v39, v40
	v_sub_f16_e32 v64, v36, v37
	v_add_f16_e32 v76, v77, v76
	v_mul_f16_e32 v70, 0x3a95, v51
	v_mul_f16_e32 v74, 0x3bf1, v44
	v_fmac_f16_e32 v69, 0xb9fd, v45
	v_add_f16_e32 v67, v68, v67
	v_add_f16_e32 v68, v78, v76
	v_fma_f16 v76, v34, 0xb9fd, -v73
	v_add_f16_e32 v63, v31, v32
	v_sub_f16_e32 v66, v29, v30
	v_mul_f16_e32 v71, 0xbb7b, v64
	v_mul_f16_e32 v75, 0xba95, v46
	v_fma_f16 v79, v50, 0x388b, -v70
	v_fmac_f16_e32 v70, 0x388b, v50
	v_fma_f16 v77, v43, 0x2fb7, -v74
	v_add_f16_e32 v67, v69, v67
	v_add_f16_e32 v69, v25, v76
	;; [unrolled: 1-line block ×3, first 2 shown]
	v_mul_f16_e32 v72, 0x3bf1, v66
	v_fma_f16 v80, v63, 0xb5ac, -v71
	v_fmac_f16_e32 v71, 0xb5ac, v63
	v_add_f16_e32 v67, v70, v67
	v_add_f16_e32 v69, v77, v69
	v_fma_f16 v70, v45, 0x388b, -v75
	v_mul_f16_e32 v76, 0x33a8, v51
	v_fma_f16 v81, v65, 0x2fb7, -v72
	v_add_f16_e32 v67, v71, v67
	v_fmac_f16_e32 v73, 0xb9fd, v34
	v_add_f16_e32 v69, v70, v69
	v_fma_f16 v70, v50, 0xbbc4, -v76
	v_mul_f16_e32 v71, 0x3770, v64
	v_fmac_f16_e32 v72, 0x2fb7, v65
	v_add_f16_e32 v73, v25, v73
	v_fmac_f16_e32 v74, 0x2fb7, v43
	v_add_f16_e32 v69, v70, v69
	v_fma_f16 v70, v63, 0x3b15, -v71
	v_add_f16_e32 v67, v72, v67
	v_mul_f16_e32 v72, 0xbb7b, v42
	v_add_f16_e32 v73, v74, v73
	v_fmac_f16_e32 v75, 0x388b, v45
	v_add_f16_e32 v69, v70, v69
	v_mul_f16_e32 v70, 0xbb7b, v66
	v_fma_f16 v74, v34, 0xb5ac, -v72
	v_mul_f16_e32 v77, 0x394e, v44
	v_add_f16_e32 v68, v79, v68
	v_add_f16_e32 v73, v75, v73
	v_fmac_f16_e32 v76, 0xbbc4, v50
	v_fma_f16 v75, v65, 0xb5ac, -v70
	v_add_f16_e32 v74, v25, v74
	v_fma_f16 v78, v43, 0xb9fd, -v77
	v_mul_f16_e32 v79, 0x3770, v46
	v_add_f16_e32 v73, v76, v73
	v_fmac_f16_e32 v71, 0x3b15, v63
	v_add_f16_e32 v69, v75, v69
	v_add_f16_e32 v74, v78, v74
	v_fma_f16 v75, v45, 0x3b15, -v79
	v_mul_f16_e32 v76, 0xbbf1, v51
	v_add_f16_e32 v71, v71, v73
	v_fmac_f16_e32 v70, 0xb5ac, v65
	v_fmac_f16_e32 v72, 0xb5ac, v34
	v_add_f16_e32 v73, v75, v74
	v_fma_f16 v74, v50, 0x2fb7, -v76
	v_mul_f16_e32 v75, 0x33a8, v64
	v_add_f16_e32 v70, v70, v71
	v_add_f16_e32 v71, v25, v72
	v_fmac_f16_e32 v77, 0xb9fd, v43
	v_add_f16_e32 v72, v74, v73
	v_fma_f16 v73, v63, 0xbbc4, -v75
	v_mul_f16_e32 v74, 0x3a95, v66
	v_mul_f16_e32 v78, 0xbbf1, v42
	v_add_f16_e32 v68, v80, v68
	v_add_f16_e32 v71, v77, v71
	v_fmac_f16_e32 v79, 0x3b15, v45
	v_add_f16_e32 v72, v73, v72
	v_fma_f16 v73, v65, 0x388b, -v74
	v_fma_f16 v77, v34, 0x2fb7, -v78
	v_mul_f16_e32 v80, 0xb3a8, v44
	v_add_f16_e32 v33, v25, v59
	v_add_f16_e32 v71, v79, v71
	v_fmac_f16_e32 v76, 0x2fb7, v50
	v_add_f16_e32 v72, v73, v72
	v_add_f16_e32 v73, v25, v77
	v_fma_f16 v77, v43, 0xbbc4, -v80
	v_mul_f16_e32 v79, 0x3b7b, v46
	v_fmac_f16_e32 v78, 0x2fb7, v34
	v_add_f16_e32 v33, v33, v56
	v_add_f16_e32 v71, v76, v71
	v_fmac_f16_e32 v75, 0xbbc4, v63
	v_add_f16_e32 v73, v77, v73
	v_fma_f16 v76, v45, 0xb5ac, -v79
	v_mul_f16_e32 v77, 0x3770, v51
	v_add_f16_e32 v78, v25, v78
	v_fmac_f16_e32 v80, 0xbbc4, v43
	v_add_f16_e32 v33, v33, v48
	v_add_f16_e32 v71, v75, v71
	v_fmac_f16_e32 v74, 0x388b, v65
	v_add_f16_e32 v73, v76, v73
	v_fma_f16 v75, v50, 0x3b15, -v77
	v_add_f16_e32 v76, v80, v78
	v_fmac_f16_e32 v79, 0xb5ac, v45
	v_mul_f16_e32 v78, 0xba95, v42
	v_add_f16_e32 v33, v33, v39
	v_add_f16_e32 v71, v74, v71
	v_mul_f16_e32 v74, 0xba95, v64
	v_add_f16_e32 v73, v75, v73
	v_add_f16_e32 v75, v79, v76
	v_fmac_f16_e32 v77, 0x3b15, v50
	v_fma_f16 v79, v34, 0x388b, -v78
	v_mul_f16_e32 v80, 0xbb7b, v44
	v_fmac_f16_e32 v78, 0x388b, v34
	v_add_f16_e32 v33, v33, v31
	v_fma_f16 v76, v63, 0x388b, -v74
	v_add_f16_e32 v75, v77, v75
	v_fmac_f16_e32 v74, 0x388b, v63
	v_add_f16_e32 v77, v25, v79
	v_fma_f16 v79, v43, 0xb5ac, -v80
	v_mul_f16_e32 v82, 0xb3a8, v46
	v_add_f16_e32 v78, v25, v78
	v_fmac_f16_e32 v80, 0xb5ac, v43
	v_mul_f16_e32 v42, 0xb770, v42
	v_add_f16_e32 v33, v33, v26
	v_add_f16_e32 v74, v74, v75
	;; [unrolled: 1-line block ×3, first 2 shown]
	v_fma_f16 v77, v45, 0xbbc4, -v82
	v_add_f16_e32 v78, v80, v78
	v_fmac_f16_e32 v82, 0xbbc4, v45
	v_mul_f16_e32 v44, 0xba95, v44
	v_fma_f16 v83, v34, 0x3b15, -v42
	v_fmac_f16_e32 v42, 0x3b15, v34
	v_add_f16_e32 v33, v33, v27
	v_add_f16_e32 v34, v82, v78
	v_fma_f16 v78, v43, 0x388b, -v44
	v_mul_f16_e32 v46, 0xbbf1, v46
	v_add_f16_e32 v42, v25, v42
	v_fmac_f16_e32 v44, 0x388b, v43
	v_add_f16_e32 v68, v81, v68
	v_mul_f16_e32 v81, 0xb94e, v66
	v_add_f16_e32 v33, v33, v32
	v_mul_f16_e32 v79, 0x394e, v51
	v_add_f16_e32 v25, v25, v83
	v_fma_f16 v43, v45, 0x2fb7, -v46
	v_mul_f16_e32 v51, 0xbb7b, v51
	v_add_f16_e32 v42, v44, v42
	v_fmac_f16_e32 v46, 0x2fb7, v45
	v_add_f16_e32 v73, v76, v73
	v_fma_f16 v76, v65, 0xb9fd, -v81
	v_add_f16_e32 v33, v33, v40
	v_add_f16_e32 v25, v78, v25
	v_fma_f16 v44, v50, 0xb5ac, -v51
	v_mul_f16_e32 v45, 0xb94e, v64
	v_add_f16_e32 v42, v46, v42
	v_fmac_f16_e32 v51, 0xb5ac, v50
	v_fmac_f16_e32 v81, 0xb9fd, v65
	v_add_f16_e32 v73, v76, v73
	v_add_f16_e32 v75, v77, v75
	v_fma_f16 v76, v50, 0xb9fd, -v79
	v_mul_f16_e32 v77, 0x3bf1, v64
	v_fmac_f16_e32 v79, 0xb9fd, v50
	v_add_f16_e32 v33, v33, v52
	v_add_f16_e32 v25, v43, v25
	v_fma_f16 v43, v63, 0xb9fd, -v45
	v_add_f16_e32 v42, v51, v42
	v_fmac_f16_e32 v45, 0xb9fd, v63
	v_mov_b32_e32 v50, 0x138
	v_mov_b32_e32 v51, 1
	v_mul_f16_e32 v46, 0xb3a8, v66
	v_add_f16_e32 v74, v81, v74
	v_add_f16_e32 v75, v76, v75
	v_mul_f16_e32 v76, 0x3770, v66
	v_fma_f16 v81, v63, 0x2fb7, -v77
	v_add_f16_e32 v34, v79, v34
	v_fmac_f16_e32 v77, 0x2fb7, v63
	v_add_f16_e32 v33, v33, v58
	v_add_f16_e32 v25, v44, v25
	;; [unrolled: 1-line block ×3, first 2 shown]
	v_mul_u32_u24_sdwa v45, v23, v50 dst_sel:DWORD dst_unused:UNUSED_PAD src0_sel:WORD_0 src1_sel:DWORD
	v_lshlrev_b32_sdwa v50, v51, v24 dst_sel:DWORD dst_unused:UNUSED_PAD src0_sel:DWORD src1_sel:BYTE_0
	v_fma_f16 v44, v65, 0xbbc4, -v46
	v_fmac_f16_e32 v46, 0xbbc4, v65
	v_fma_f16 v80, v65, 0x3b15, -v76
	v_add_f16_e32 v34, v77, v34
	v_fmac_f16_e32 v76, 0x3b15, v65
	v_add_f16_e32 v33, v33, v61
	v_add_f16_e32 v51, v81, v75
	;; [unrolled: 1-line block ×3, first 2 shown]
	v_add3_u32 v43, 0, v45, v50
	v_add_f16_e32 v42, v46, v42
	v_add_f16_e32 v34, v76, v34
	;; [unrolled: 1-line block ×4, first 2 shown]
	ds_write_b16 v43, v33
	ds_write_b16 v43, v42 offset:24
	ds_write_b16 v43, v34 offset:48
	;; [unrolled: 1-line block ×12, first 2 shown]
.LBB0_19:
	s_or_b32 exec_lo, exec_lo, s1
	v_add_nc_u32_e32 v21, v21, v22
	v_add_nc_u32_e32 v22, v3, v41
	s_waitcnt lgkmcnt(0)
	s_barrier
	buffer_gl0_inv
	v_add_nc_u32_e32 v25, v10, v38
	v_add_nc_u32_e32 v20, v20, v35
	ds_read_u16 v38, v19
	ds_read_u16 v45, v19 offset:1170
	ds_read_u16 v43, v19 offset:1404
	ds_read_u16 v50, v21
	ds_read_u16 v35, v22
	;; [unrolled: 1-line block ×4, first 2 shown]
	ds_read_u16 v46, v19 offset:2106
	ds_read_u16 v44, v19 offset:2340
	;; [unrolled: 1-line block ×5, first 2 shown]
	s_waitcnt lgkmcnt(0)
	s_barrier
	buffer_gl0_inv
	s_and_saveexec_b32 s1, s0
	s_cbranch_execz .LBB0_21
; %bb.20:
	v_add_f16_e32 v3, v28, v62
	v_add_f16_e32 v10, v62, v55
	v_sub_f16_e32 v59, v59, v61
	v_add_f16_e32 v61, v60, v57
	v_sub_f16_e32 v56, v56, v58
	v_add_f16_e32 v3, v3, v60
	v_mul_f16_e32 v60, 0x388b, v10
	v_mul_f16_e32 v58, 0x3b15, v10
	;; [unrolled: 1-line block ×4, first 2 shown]
	v_add_f16_e32 v3, v3, v53
	v_fmamk_f16 v70, v59, 0x3a95, v60
	v_fmac_f16_e32 v60, 0xba95, v59
	v_mul_f16_e32 v63, 0xb5ac, v10
	v_mul_f16_e32 v64, 0xb9fd, v10
	v_add_f16_e32 v3, v3, v47
	v_mul_f16_e32 v10, 0xbbc4, v10
	v_mul_f16_e32 v65, 0x388b, v61
	v_fmamk_f16 v69, v59, 0x3770, v58
	v_fmamk_f16 v75, v56, 0x3b7b, v66
	v_add_f16_e32 v3, v3, v36
	v_fmac_f16_e32 v66, 0xbb7b, v56
	v_add_f16_e32 v60, v28, v60
	v_mul_f16_e32 v67, 0xbbc4, v61
	v_fmac_f16_e32 v58, 0xb770, v59
	v_add_f16_e32 v3, v3, v29
	v_fmamk_f16 v71, v59, 0x3bf1, v62
	v_fmac_f16_e32 v62, 0xbbf1, v59
	v_fmamk_f16 v72, v59, 0x3b7b, v63
	v_fmac_f16_e32 v63, 0xbb7b, v59
	v_add_f16_e32 v3, v3, v30
	v_fmamk_f16 v73, v59, 0x394e, v64
	v_fmac_f16_e32 v64, 0xb94e, v59
	v_fmamk_f16 v74, v59, 0x33a8, v10
	v_fmac_f16_e32 v10, 0xb3a8, v59
	v_add_f16_e32 v3, v3, v37
	v_fmamk_f16 v59, v56, 0x3a95, v65
	v_add_f16_e32 v69, v28, v69
	v_add_f16_e32 v60, v66, v60
	v_mul_f16_e32 v66, 0x2fb7, v61
	v_add_f16_e32 v3, v3, v49
	v_add_f16_e32 v53, v53, v54
	v_mul_f16_e32 v68, 0xb9fd, v61
	v_fmac_f16_e32 v65, 0xba95, v56
	v_add_f16_e32 v58, v28, v58
	v_add_f16_e32 v3, v3, v54
	;; [unrolled: 1-line block ×13, first 2 shown]
	v_fmamk_f16 v59, v56, 0x33a8, v67
	v_fmac_f16_e32 v67, 0xb3a8, v56
	v_fmamk_f16 v54, v56, 0xbbf1, v66
	v_mul_f16_e32 v61, 0x3b15, v61
	v_fmac_f16_e32 v66, 0x3bf1, v56
	v_sub_f16_e32 v48, v48, v52
	v_mul_f16_e32 v52, 0x2fb7, v53
	v_add_f16_e32 v58, v65, v58
	v_fmamk_f16 v65, v56, 0xb94e, v68
	v_fmac_f16_e32 v68, 0x394e, v56
	v_add_f16_e32 v62, v67, v62
	v_fmamk_f16 v67, v56, 0xb770, v61
	v_fmac_f16_e32 v61, 0x3770, v56
	v_add_f16_e32 v56, v66, v64
	v_fmamk_f16 v64, v48, 0x3bf1, v52
	v_mul_f16_e32 v66, 0xbbc4, v53
	v_add_f16_e32 v3, v3, v55
	v_add_f16_e32 v55, v75, v70
	;; [unrolled: 1-line block ×4, first 2 shown]
	v_fmamk_f16 v61, v48, 0x33a8, v66
	v_mul_f16_e32 v64, 0xb5ac, v53
	v_add_f16_e32 v59, v59, v71
	v_fmac_f16_e32 v52, 0xbbf1, v48
	v_add_f16_e32 v47, v47, v49
	v_add_f16_e32 v55, v61, v55
	v_fmamk_f16 v61, v48, 0xbb7b, v64
	v_add_f16_e32 v54, v54, v73
	v_fmac_f16_e32 v66, 0xb3a8, v48
	v_add_f16_e32 v52, v52, v58
	v_mul_f16_e32 v58, 0x3b15, v53
	v_add_f16_e32 v59, v61, v59
	v_mul_f16_e32 v61, 0x388b, v53
	v_mul_f16_e32 v53, 0xb9fd, v53
	v_sub_f16_e32 v39, v39, v40
	v_mul_f16_e32 v40, 0xb5ac, v47
	v_add_f16_e32 v60, v66, v60
	v_fmamk_f16 v49, v48, 0x3a95, v61
	v_fmac_f16_e32 v61, 0xba95, v48
	v_fmac_f16_e32 v64, 0x3b7b, v48
	v_fmamk_f16 v66, v48, 0xb770, v58
	v_fmac_f16_e32 v58, 0x3770, v48
	v_add_f16_e32 v49, v49, v54
	v_fmamk_f16 v54, v48, 0x394e, v53
	v_fmac_f16_e32 v53, 0xb94e, v48
	v_add_f16_e32 v48, v61, v56
	v_fmamk_f16 v56, v39, 0x3b7b, v40
	v_mul_f16_e32 v61, 0xb9fd, v47
	v_fmac_f16_e32 v40, 0xbb7b, v39
	v_add_f16_e32 v10, v53, v10
	v_add_f16_e32 v63, v68, v63
	;; [unrolled: 1-line block ×3, first 2 shown]
	v_fmamk_f16 v53, v39, 0xb94e, v61
	v_mul_f16_e32 v56, 0x3b15, v47
	v_add_f16_e32 v57, v67, v57
	v_fmac_f16_e32 v61, 0x394e, v39
	v_add_f16_e32 v40, v40, v52
	v_add_f16_e32 v53, v53, v55
	v_fmamk_f16 v55, v39, 0xb770, v56
	v_mul_f16_e32 v52, 0x2fb7, v47
	v_add_f16_e32 v36, v36, v37
	v_add_f16_e32 v58, v58, v63
	;; [unrolled: 1-line block ×4, first 2 shown]
	v_mul_f16_e32 v59, 0xbbc4, v47
	v_add_f16_e32 v57, v61, v60
	v_fmamk_f16 v60, v39, 0x3bf1, v52
	v_fmac_f16_e32 v52, 0xbbf1, v39
	v_mul_f16_e32 v47, 0x388b, v47
	v_fmamk_f16 v37, v39, 0xb3a8, v59
	v_sub_f16_e32 v31, v31, v32
	v_mul_f16_e32 v32, 0xb9fd, v36
	v_fmac_f16_e32 v56, 0x3770, v39
	v_add_f16_e32 v52, v52, v58
	v_fmac_f16_e32 v59, 0x33a8, v39
	v_add_f16_e32 v37, v37, v49
	v_fmamk_f16 v49, v39, 0xba95, v47
	v_fmac_f16_e32 v47, 0x3a95, v39
	v_fmamk_f16 v39, v31, 0x394e, v32
	v_mul_f16_e32 v58, 0x2fb7, v36
	v_fmac_f16_e32 v32, 0xb94e, v31
	v_add_f16_e32 v49, v49, v54
	v_add_f16_e32 v10, v47, v10
	;; [unrolled: 1-line block ×3, first 2 shown]
	v_fmamk_f16 v39, v31, 0xbbf1, v58
	v_mul_f16_e32 v47, 0x388b, v36
	v_add_f16_e32 v32, v32, v40
	v_fmac_f16_e32 v58, 0x3bf1, v31
	v_mul_f16_e32 v40, 0xbbc4, v36
	v_add_f16_e32 v39, v39, v53
	v_fmamk_f16 v53, v31, 0x3a95, v47
	v_add_f16_e32 v29, v29, v30
	v_add_f16_e32 v54, v58, v57
	v_fmamk_f16 v57, v31, 0xb3a8, v40
	v_fmac_f16_e32 v40, 0x33a8, v31
	v_mul_f16_e32 v30, 0xb5ac, v36
	v_add_f16_e32 v62, v64, v62
	v_add_f16_e32 v53, v53, v55
	v_mul_f16_e32 v55, 0x3b15, v36
	v_add_f16_e32 v40, v40, v52
	v_fmamk_f16 v52, v31, 0x3b7b, v30
	v_fmac_f16_e32 v30, 0xbb7b, v31
	v_add_f16_e32 v56, v56, v62
	v_add_f16_e32 v48, v59, v48
	v_fmac_f16_e32 v47, 0xba95, v31
	v_fmamk_f16 v36, v31, 0xb770, v55
	v_fmac_f16_e32 v55, 0x3770, v31
	v_sub_f16_e32 v26, v26, v27
	v_mul_f16_e32 v27, 0xbbc4, v29
	v_add_f16_e32 v10, v30, v10
	v_mul_f16_e32 v30, 0xb9fd, v29
	v_add_f16_e32 v65, v65, v72
	v_add_f16_e32 v47, v47, v56
	;; [unrolled: 1-line block ×4, first 2 shown]
	v_fmamk_f16 v31, v26, 0x33a8, v27
	v_add_f16_e32 v48, v52, v49
	v_fmac_f16_e32 v27, 0xb3a8, v26
	v_mul_f16_e32 v49, 0x3b15, v29
	v_fmamk_f16 v52, v26, 0x394e, v30
	v_fmac_f16_e32 v30, 0xb94e, v26
	v_add_f16_e32 v64, v66, v65
	v_add_f16_e32 v28, v31, v28
	;; [unrolled: 1-line block ×3, first 2 shown]
	v_fmamk_f16 v31, v26, 0xb770, v49
	v_mul_f16_e32 v32, 0x388b, v29
	v_fmac_f16_e32 v49, 0x3770, v26
	v_add_f16_e32 v52, v52, v53
	v_add_f16_e32 v30, v30, v47
	v_mov_b32_e32 v47, 0x138
	v_mov_b32_e32 v53, 1
	v_add_f16_e32 v60, v60, v64
	v_add_f16_e32 v31, v31, v39
	v_fmamk_f16 v39, v26, 0xba95, v32
	v_add_f16_e32 v49, v49, v54
	v_fmac_f16_e32 v32, 0x3a95, v26
	v_mul_f16_e32 v54, 0xb5ac, v29
	v_mul_f16_e32 v29, 0x2fb7, v29
	v_mul_u32_u24_sdwa v23, v23, v47 dst_sel:DWORD dst_unused:UNUSED_PAD src0_sel:WORD_0 src1_sel:DWORD
	v_lshlrev_b32_sdwa v24, v53, v24 dst_sel:DWORD dst_unused:UNUSED_PAD src0_sel:DWORD src1_sel:BYTE_0
	v_add_f16_e32 v56, v57, v60
	v_add_f16_e32 v32, v32, v40
	v_fmamk_f16 v40, v26, 0x3b7b, v54
	v_fmac_f16_e32 v54, 0xbb7b, v26
	v_fmamk_f16 v47, v26, 0xbbf1, v29
	v_fmac_f16_e32 v29, 0x3bf1, v26
	v_add3_u32 v23, 0, v23, v24
	v_add_f16_e32 v39, v39, v56
	v_add_f16_e32 v24, v40, v36
	v_add_f16_e32 v26, v54, v37
	v_add_f16_e32 v36, v47, v48
	v_add_f16_e32 v10, v29, v10
	ds_write_b16 v23, v3
	ds_write_b16 v23, v28 offset:24
	ds_write_b16 v23, v31 offset:48
	;; [unrolled: 1-line block ×12, first 2 shown]
.LBB0_21:
	s_or_b32 exec_lo, exec_lo, s1
	v_lshrrev_b16 v23, 2, v7
	v_mov_b32_e32 v28, 0xd21
	v_lshrrev_b16 v30, 2, v5
	v_subrev_nc_u32_e32 v10, 39, v13
	v_mov_b32_e32 v3, 0
	v_cmp_gt_u32_e64 s0, 39, v13
	v_mul_u32_u24_sdwa v23, v23, v28 dst_sel:DWORD dst_unused:UNUSED_PAD src0_sel:WORD_0 src1_sel:DWORD
	v_mul_u32_u24_sdwa v28, v30, v28 dst_sel:DWORD dst_unused:UNUSED_PAD src0_sel:WORD_0 src1_sel:DWORD
	s_waitcnt lgkmcnt(0)
	s_barrier
	v_cndmask_b32_e64 v24, v10, v9, s0
	v_lshlrev_b64 v[9:10], 2, v[2:3]
	v_lshrrev_b32_e32 v32, 17, v23
	v_lshrrev_b32_e32 v28, 17, v28
	buffer_gl0_inv
	v_lshlrev_b32_e32 v2, 1, v24
	v_mov_b32_e32 v48, 1
	v_add_co_u32 v9, s0, s8, v9
	v_add_co_ci_u32_e64 v10, s0, s9, v10, s0
	v_mul_lo_u16 v29, 0x9c, v32
	v_mul_lo_u16 v30, 0x9c, v28
	v_lshlrev_b64 v[23:24], 2, v[2:3]
	global_load_dwordx2 v[26:27], v[9:10], off offset:616
	v_mul_u32_u24_e32 v32, 0x3a8, v32
	v_sub_nc_u16 v7, v7, v29
	v_mov_b32_e32 v29, 3
	v_sub_nc_u16 v5, v5, v30
	v_add_co_u32 v23, s0, s8, v23
	v_add_co_ci_u32_e64 v24, s0, s9, v24, s0
	v_lshlrev_b32_sdwa v29, v29, v7 dst_sel:DWORD dst_unused:UNUSED_PAD src0_sel:DWORD src1_sel:WORD_0
	v_and_b32_e32 v5, 0xffff, v5
	v_cmp_lt_u32_e64 s0, 38, v13
	global_load_dwordx2 v[23:24], v[23:24], off offset:616
	v_lshlrev_b32_sdwa v7, v48, v7 dst_sel:DWORD dst_unused:UNUSED_PAD src0_sel:DWORD src1_sel:WORD_0
	global_load_dwordx2 v[28:29], v29, s[8:9] offset:616
	v_lshlrev_b32_e32 v30, 3, v5
	v_cndmask_b32_e64 v54, 0, 0x3a8, s0
	v_lshl_add_u32 v5, v5, 1, 0
	v_add3_u32 v7, 0, v32, v7
	global_load_dwordx2 v[30:31], v30, s[8:9] offset:616
	ds_read_u16 v36, v21
	ds_read_u16 v37, v19 offset:1872
	ds_read_u16 v39, v19
	ds_read_u16 v40, v19 offset:1170
	ds_read_u16 v47, v19 offset:1404
	ds_read_u16 v49, v22
	ds_read_u16 v52, v25
	;; [unrolled: 1-line block ×3, first 2 shown]
	ds_read_u16 v48, v19 offset:2106
	ds_read_u16 v55, v19 offset:2340
	;; [unrolled: 1-line block ×4, first 2 shown]
	v_add3_u32 v54, 0, v54, v2
	s_waitcnt vmcnt(0) lgkmcnt(0)
	s_barrier
	buffer_gl0_inv
	v_mul_f16_sdwa v2, v36, v26 dst_sel:DWORD dst_unused:UNUSED_PAD src0_sel:DWORD src1_sel:WORD_1
	v_mul_f16_sdwa v32, v50, v26 dst_sel:DWORD dst_unused:UNUSED_PAD src0_sel:DWORD src1_sel:WORD_1
	;; [unrolled: 1-line block ×4, first 2 shown]
	v_fmac_f16_e32 v2, v50, v26
	v_fma_f16 v26, v36, v26, -v32
	v_fmac_f16_e32 v58, v51, v27
	v_fma_f16 v27, v37, v27, -v59
	v_add_f16_e32 v51, v38, v2
	v_add_f16_e32 v61, v39, v26
	v_mul_f16_sdwa v32, v40, v23 dst_sel:DWORD dst_unused:UNUSED_PAD src0_sel:DWORD src1_sel:WORD_1
	v_mul_f16_sdwa v36, v45, v23 dst_sel:DWORD dst_unused:UNUSED_PAD src0_sel:DWORD src1_sel:WORD_1
	;; [unrolled: 1-line block ×3, first 2 shown]
	v_sub_f16_e32 v60, v26, v27
	v_add_f16_e32 v26, v26, v27
	v_mul_f16_sdwa v62, v47, v28 dst_sel:DWORD dst_unused:UNUSED_PAD src0_sel:DWORD src1_sel:WORD_1
	v_mul_f16_sdwa v63, v43, v28 dst_sel:DWORD dst_unused:UNUSED_PAD src0_sel:DWORD src1_sel:WORD_1
	;; [unrolled: 1-line block ×5, first 2 shown]
	v_add_f16_e32 v59, v2, v58
	v_fmac_f16_e32 v32, v45, v23
	v_fma_f16 v23, v40, v23, -v36
	v_fmac_f16_e32 v37, v46, v24
	v_add_f16_e32 v40, v61, v27
	v_fmac_f16_e32 v39, -0.5, v26
	v_fmac_f16_e32 v62, v43, v28
	v_fma_f16 v26, v47, v28, -v63
	v_fma_f16 v27, v55, v29, -v65
	v_mul_f16_sdwa v28, v57, v30 dst_sel:DWORD dst_unused:UNUSED_PAD src0_sel:DWORD src1_sel:WORD_1
	v_mul_f16_sdwa v43, v56, v31 dst_sel:DWORD dst_unused:UNUSED_PAD src0_sel:DWORD src1_sel:WORD_1
	v_sub_f16_e32 v2, v2, v58
	v_add_f16_e32 v36, v51, v58
	v_fmac_f16_e32 v64, v44, v29
	v_fma_f16 v24, v48, v24, -v50
	v_fmac_f16_e32 v38, -0.5, v59
	v_mul_f16_sdwa v29, v42, v30 dst_sel:DWORD dst_unused:UNUSED_PAD src0_sel:DWORD src1_sel:WORD_1
	v_mul_f16_sdwa v44, v41, v31 dst_sel:DWORD dst_unused:UNUSED_PAD src0_sel:DWORD src1_sel:WORD_1
	v_add_f16_e32 v47, v32, v37
	v_fmac_f16_e32 v28, v42, v30
	v_fmac_f16_e32 v43, v41, v31
	v_sub_f16_e32 v41, v26, v27
	v_add_f16_e32 v42, v52, v26
	v_add_f16_e32 v26, v26, v27
	v_fmamk_f16 v46, v2, 0x3aee, v39
	v_fmac_f16_e32 v39, 0xbaee, v2
	v_add_f16_e32 v2, v35, v32
	ds_write_b16 v19, v36
	v_add_f16_e32 v36, v62, v64
	v_add_f16_e32 v50, v49, v23
	v_fmamk_f16 v45, v60, 0xbaee, v38
	v_sub_f16_e32 v48, v23, v24
	v_fma_f16 v29, v57, v30, -v29
	v_fma_f16 v30, v56, v31, -v44
	v_fmac_f16_e32 v35, -0.5, v47
	v_fmac_f16_e32 v52, -0.5, v26
	v_add_f16_e32 v26, v28, v43
	v_fmac_f16_e32 v38, 0x3aee, v60
	v_add_f16_e32 v23, v23, v24
	v_add_f16_e32 v31, v34, v62
	;; [unrolled: 1-line block ×3, first 2 shown]
	v_fmac_f16_e32 v34, -0.5, v36
	v_sub_f16_e32 v32, v32, v37
	v_add_f16_e32 v37, v50, v24
	v_add_f16_e32 v24, v33, v28
	ds_write_b16 v19, v45 offset:312
	ds_write_b16 v19, v38 offset:624
	v_add_f16_e32 v36, v42, v27
	v_sub_f16_e32 v27, v29, v30
	v_sub_f16_e32 v38, v28, v43
	v_fmamk_f16 v28, v48, 0xbaee, v35
	v_fmac_f16_e32 v33, -0.5, v26
	v_fmac_f16_e32 v35, 0x3aee, v48
	v_fmac_f16_e32 v49, -0.5, v23
	v_add_f16_e32 v23, v31, v64
	v_add_f16_e32 v31, v53, v29
	;; [unrolled: 1-line block ×3, first 2 shown]
	ds_write_b16 v54, v2
	v_fmamk_f16 v2, v41, 0xbaee, v34
	v_fmac_f16_e32 v34, 0x3aee, v41
	v_add_f16_e32 v24, v24, v43
	ds_write_b16 v54, v28 offset:312
	ds_write_b16 v54, v35 offset:624
	ds_write_b16 v7, v23
	v_fmamk_f16 v23, v27, 0xbaee, v33
	v_fmac_f16_e32 v33, 0x3aee, v27
	v_fmamk_f16 v42, v32, 0x3aee, v49
	v_fmac_f16_e32 v49, 0xbaee, v32
	v_add_f16_e32 v43, v31, v30
	v_fmac_f16_e32 v53, -0.5, v29
	ds_write_b16 v7, v2 offset:312
	ds_write_b16 v7, v34 offset:624
	;; [unrolled: 1-line block ×5, first 2 shown]
	s_waitcnt lgkmcnt(0)
	s_barrier
	buffer_gl0_inv
	ds_read_u16 v32, v19
	ds_read_u16 v26, v19 offset:1170
	ds_read_u16 v27, v19 offset:1404
	ds_read_u16 v33, v21
	ds_read_u16 v2, v22
	;; [unrolled: 1-line block ×4, first 2 shown]
	ds_read_u16 v28, v19 offset:2106
	ds_read_u16 v29, v19 offset:2340
	ds_read_u16 v30, v19 offset:2574
	ds_read_u16 v34, v19 offset:1872
	ds_read_u16 v31, v19 offset:1638
	v_sub_f16_e32 v44, v62, v64
	v_fmamk_f16 v35, v38, 0x3aee, v53
	v_fmac_f16_e32 v53, 0xbaee, v38
	s_waitcnt lgkmcnt(0)
	s_barrier
	v_fmamk_f16 v41, v44, 0x3aee, v52
	v_fmac_f16_e32 v52, 0xbaee, v44
	buffer_gl0_inv
	ds_write_b16 v19, v40
	ds_write_b16 v19, v46 offset:312
	ds_write_b16 v19, v39 offset:624
	ds_write_b16 v54, v37
	ds_write_b16 v54, v42 offset:312
	ds_write_b16 v54, v49 offset:624
	;; [unrolled: 3-line block ×3, first 2 shown]
	ds_write_b16 v5, v43 offset:1872
	ds_write_b16 v5, v35 offset:2184
	;; [unrolled: 1-line block ×3, first 2 shown]
	s_waitcnt lgkmcnt(0)
	s_barrier
	buffer_gl0_inv
	s_and_saveexec_b32 s0, vcc_lo
	s_cbranch_execz .LBB0_23
; %bb.22:
	global_load_dwordx2 v[35:36], v[9:10], off offset:1864
	v_mov_b32_e32 v9, v3
	v_mov_b32_e32 v7, v3
	;; [unrolled: 1-line block ×3, first 2 shown]
	v_lshrrev_b32_e32 v41, 2, v12
	v_mad_u64_u32 v[37:38], null, s2, v15, 0
	v_lshlrev_b64 v[8:9], 2, v[8:9]
	v_lshlrev_b64 v[6:7], 2, v[6:7]
	;; [unrolled: 1-line block ×3, first 2 shown]
	v_mad_u64_u32 v[39:40], null, s2, v17, 0
	v_mul_hi_u32 v45, 0x46046047, v41
	v_add_co_u32 v8, vcc_lo, s8, v8
	v_add_co_ci_u32_e32 v9, vcc_lo, s9, v9, vcc_lo
	v_add_co_u32 v5, vcc_lo, s8, v6
	v_add_co_ci_u32_e32 v6, vcc_lo, s9, v7, vcc_lo
	;; [unrolled: 2-line block ×3, first 2 shown]
	s_clause 0x2
	global_load_dwordx2 v[7:8], v[8:9], off offset:1864
	global_load_dwordx2 v[5:6], v[5:6], off offset:1864
	;; [unrolled: 1-line block ×3, first 2 shown]
	ds_read_u16 v52, v19 offset:2574
	ds_read_u16 v53, v19 offset:2340
	;; [unrolled: 1-line block ×7, first 2 shown]
	ds_read_u16 v59, v19
	ds_read_u16 v60, v20
	;; [unrolled: 1-line block ×5, first 2 shown]
	v_mad_u64_u32 v[9:10], null, s2, v13, 0
	v_lshrrev_b32_e32 v25, 2, v11
	v_add_co_u32 v64, vcc_lo, s12, v0
	v_add_co_ci_u32_e32 v65, vcc_lo, s13, v1, vcc_lo
	v_mad_u64_u32 v[0:1], null, s2, v16, 0
	v_mul_hi_u32 v44, 0x46046047, v25
	v_mad_u64_u32 v[19:20], null, s2, v18, 0
	v_mad_u64_u32 v[21:22], null, s2, v14, 0
	v_mov_b32_e32 v25, v38
	v_mov_b32_e32 v38, v40
	v_mad_u64_u32 v[40:41], null, s3, v13, v[10:11]
	v_mad_u64_u32 v[41:42], null, s3, v16, v[1:2]
	v_lshrrev_b32_e32 v10, 5, v45
	v_lshrrev_b32_e32 v1, 5, v44
	v_mad_u64_u32 v[42:43], null, s3, v18, v[20:21]
	v_mad_u64_u32 v[13:14], null, s3, v14, v[22:23]
	;; [unrolled: 1-line block ×3, first 2 shown]
	v_mad_u32_u24 v47, 0x3a8, v10, v12
	v_mov_b32_e32 v10, v40
	v_mad_u64_u32 v[15:16], null, s3, v17, v[38:39]
	v_mad_u32_u24 v25, 0x3a8, v1, v11
	v_mov_b32_e32 v1, v41
	v_lshlrev_b64 v[9:10], 2, v[9:10]
	v_mov_b32_e32 v20, v42
	v_mov_b32_e32 v38, v14
	v_add_nc_u32_e32 v48, 0x1d4, v25
	v_lshlrev_b64 v[0:1], 2, v[0:1]
	v_mov_b32_e32 v22, v13
	v_mov_b32_e32 v40, v15
	v_add_nc_u32_e32 v49, 0x3a8, v25
	v_mad_u64_u32 v[11:12], null, s2, v25, 0
	v_mad_u64_u32 v[13:14], null, s2, v47, 0
	v_lshlrev_b64 v[15:16], 2, v[19:20]
	v_add_co_u32 v9, vcc_lo, v64, v9
	v_add_nc_u32_e32 v50, 0x1d4, v47
	v_lshlrev_b64 v[19:20], 2, v[37:38]
	v_mad_u64_u32 v[37:38], null, s2, v48, 0
	v_add_co_ci_u32_e32 v10, vcc_lo, v65, v10, vcc_lo
	v_add_co_u32 v0, vcc_lo, v64, v0
	v_add_nc_u32_e32 v51, 0x3a8, v47
	v_lshlrev_b64 v[17:18], 2, v[21:22]
	v_lshlrev_b64 v[21:22], 2, v[39:40]
	v_mad_u64_u32 v[39:40], null, s2, v49, 0
	v_add_co_ci_u32_e32 v1, vcc_lo, v65, v1, vcc_lo
	v_mad_u64_u32 v[41:42], null, s2, v50, 0
	v_add_co_u32 v15, vcc_lo, v64, v15
	v_mad_u64_u32 v[45:46], null, s3, v25, v[12:13]
	v_mad_u64_u32 v[43:44], null, s2, v51, 0
	v_mov_b32_e32 v12, v38
	v_mad_u64_u32 v[46:47], null, s3, v47, v[14:15]
	v_mov_b32_e32 v25, v40
	v_mov_b32_e32 v14, v42
	v_mad_u64_u32 v[47:48], null, s3, v48, v[12:13]
	v_mov_b32_e32 v12, v45
	v_add_co_ci_u32_e32 v16, vcc_lo, v65, v16, vcc_lo
	v_mov_b32_e32 v38, v44
	v_mad_u64_u32 v[48:49], null, s3, v49, v[25:26]
	v_add_co_u32 v17, vcc_lo, v64, v17
	v_mad_u64_u32 v[49:50], null, s3, v50, v[14:15]
	v_mov_b32_e32 v14, v46
	v_add_co_ci_u32_e32 v18, vcc_lo, v65, v18, vcc_lo
	v_add_co_u32 v19, vcc_lo, v64, v19
	v_lshlrev_b64 v[11:12], 2, v[11:12]
	v_mad_u64_u32 v[50:51], null, s3, v51, v[38:39]
	v_mov_b32_e32 v38, v47
	v_add_co_ci_u32_e32 v20, vcc_lo, v65, v20, vcc_lo
	v_add_co_u32 v21, vcc_lo, v64, v21
	v_lshlrev_b64 v[13:14], 2, v[13:14]
	v_mov_b32_e32 v40, v48
	v_add_co_ci_u32_e32 v22, vcc_lo, v65, v22, vcc_lo
	v_lshlrev_b64 v[37:38], 2, v[37:38]
	v_add_co_u32 v11, vcc_lo, v64, v11
	v_mov_b32_e32 v42, v49
	v_add_co_ci_u32_e32 v12, vcc_lo, v65, v12, vcc_lo
	v_lshlrev_b64 v[39:40], 2, v[39:40]
	v_add_co_u32 v13, vcc_lo, v64, v13
	;; [unrolled: 4-line block ×3, first 2 shown]
	v_add_co_ci_u32_e32 v38, vcc_lo, v65, v38, vcc_lo
	v_lshlrev_b64 v[43:44], 2, v[43:44]
	v_add_co_u32 v39, vcc_lo, v64, v39
	v_add_co_ci_u32_e32 v40, vcc_lo, v65, v40, vcc_lo
	v_add_co_u32 v41, vcc_lo, v64, v41
	v_add_co_ci_u32_e32 v42, vcc_lo, v65, v42, vcc_lo
	s_waitcnt vmcnt(3)
	v_mul_f16_sdwa v25, v33, v35 dst_sel:DWORD dst_unused:UNUSED_PAD src0_sel:DWORD src1_sel:WORD_1
	v_mul_f16_sdwa v45, v34, v36 dst_sel:DWORD dst_unused:UNUSED_PAD src0_sel:DWORD src1_sel:WORD_1
	s_waitcnt lgkmcnt(0)
	v_mul_f16_sdwa v46, v63, v35 dst_sel:DWORD dst_unused:UNUSED_PAD src0_sel:DWORD src1_sel:WORD_1
	v_mul_f16_sdwa v47, v55, v36 dst_sel:DWORD dst_unused:UNUSED_PAD src0_sel:DWORD src1_sel:WORD_1
	v_fma_f16 v25, v63, v35, -v25
	v_fma_f16 v45, v55, v36, -v45
	v_fmac_f16_e32 v46, v33, v35
	v_fmac_f16_e32 v47, v34, v36
	v_add_co_u32 v33, vcc_lo, v64, v43
	v_add_co_ci_u32_e32 v34, vcc_lo, v65, v44, vcc_lo
	v_add_f16_e32 v35, v25, v45
	v_sub_f16_e32 v36, v46, v47
	v_add_f16_e32 v43, v46, v47
	v_add_f16_e32 v44, v59, v25
	;; [unrolled: 1-line block ×3, first 2 shown]
	v_sub_f16_e32 v25, v25, v45
	v_fma_f16 v35, -0.5, v35, v59
	v_fma_f16 v32, -0.5, v43, v32
	v_add_f16_e32 v43, v44, v45
	v_add_f16_e32 v44, v46, v47
	v_fmamk_f16 v66, v36, 0xbaee, v35
	s_waitcnt vmcnt(2)
	v_mul_f16_sdwa v45, v31, v7 dst_sel:DWORD dst_unused:UNUSED_PAD src0_sel:DWORD src1_sel:WORD_1
	v_mul_f16_sdwa v46, v30, v8 dst_sel:DWORD dst_unused:UNUSED_PAD src0_sel:DWORD src1_sel:WORD_1
	v_mul_f16_sdwa v47, v56, v7 dst_sel:DWORD dst_unused:UNUSED_PAD src0_sel:DWORD src1_sel:WORD_1
	v_mul_f16_sdwa v48, v52, v8 dst_sel:DWORD dst_unused:UNUSED_PAD src0_sel:DWORD src1_sel:WORD_1
	s_waitcnt vmcnt(1)
	v_mul_f16_sdwa v49, v27, v5 dst_sel:DWORD dst_unused:UNUSED_PAD src0_sel:DWORD src1_sel:WORD_1
	v_mul_f16_sdwa v50, v29, v6 dst_sel:DWORD dst_unused:UNUSED_PAD src0_sel:DWORD src1_sel:WORD_1
	v_mul_f16_sdwa v51, v57, v5 dst_sel:DWORD dst_unused:UNUSED_PAD src0_sel:DWORD src1_sel:WORD_1
	v_mul_f16_sdwa v55, v53, v6 dst_sel:DWORD dst_unused:UNUSED_PAD src0_sel:DWORD src1_sel:WORD_1
	;; [unrolled: 5-line block ×3, first 2 shown]
	v_fmamk_f16 v67, v25, 0x3aee, v32
	v_fmac_f16_e32 v35, 0x3aee, v36
	v_fmac_f16_e32 v32, 0xbaee, v25
	v_pack_b32_f16 v25, v44, v43
	v_fma_f16 v36, v56, v7, -v45
	v_fma_f16 v43, v52, v8, -v46
	v_fmac_f16_e32 v47, v31, v7
	v_fmac_f16_e32 v48, v30, v8
	v_fma_f16 v7, v57, v5, -v49
	v_fma_f16 v8, v53, v6, -v50
	v_fmac_f16_e32 v51, v27, v5
	v_fmac_f16_e32 v55, v29, v6
	;; [unrolled: 4-line block ×3, first 2 shown]
	global_store_dword v[9:10], v25, off
	v_pack_b32_f16 v3, v32, v35
	v_add_f16_e32 v9, v36, v43
	v_add_f16_e32 v25, v47, v48
	v_sub_f16_e32 v26, v36, v43
	v_add_f16_e32 v27, v60, v36
	v_add_f16_e32 v36, v5, v6
	;; [unrolled: 1-line block ×3, first 2 shown]
	v_pack_b32_f16 v4, v67, v66
	v_sub_f16_e32 v10, v47, v48
	v_add_f16_e32 v28, v24, v47
	v_add_f16_e32 v29, v7, v8
	;; [unrolled: 1-line block ×3, first 2 shown]
	v_sub_f16_e32 v46, v5, v6
	v_add_f16_e32 v5, v62, v5
	v_add_f16_e32 v47, v2, v64
	v_sub_f16_e32 v44, v64, v65
	global_store_dword v[0:1], v3, off
	global_store_dword v[15:16], v4, off
	v_fma_f16 v1, -0.5, v25, v24
	v_fma_f16 v16, -0.5, v36, v62
	;; [unrolled: 1-line block ×3, first 2 shown]
	v_sub_f16_e32 v32, v7, v8
	v_add_f16_e32 v7, v61, v7
	v_add_f16_e32 v35, v23, v51
	v_sub_f16_e32 v30, v51, v55
	v_fma_f16 v0, -0.5, v9, v60
	v_fma_f16 v9, -0.5, v29, v61
	;; [unrolled: 1-line block ×3, first 2 shown]
	v_add_f16_e32 v5, v5, v6
	v_add_f16_e32 v6, v47, v65
	;; [unrolled: 1-line block ×3, first 2 shown]
	v_fmamk_f16 v24, v26, 0x3aee, v1
	v_fmac_f16_e32 v1, 0xbaee, v26
	v_fmamk_f16 v26, v44, 0xbaee, v16
	v_fmamk_f16 v27, v46, 0x3aee, v2
	v_fmac_f16_e32 v16, 0x3aee, v44
	v_fmac_f16_e32 v2, 0xbaee, v46
	v_add_f16_e32 v4, v28, v48
	v_add_f16_e32 v7, v7, v8
	;; [unrolled: 1-line block ×3, first 2 shown]
	v_fmamk_f16 v23, v10, 0xbaee, v0
	v_fmac_f16_e32 v0, 0x3aee, v10
	v_fmamk_f16 v10, v30, 0xbaee, v9
	v_fmamk_f16 v25, v32, 0x3aee, v15
	v_fmac_f16_e32 v9, 0x3aee, v30
	v_pack_b32_f16 v5, v6, v5
	v_fmac_f16_e32 v15, 0xbaee, v32
	v_pack_b32_f16 v2, v2, v16
	v_pack_b32_f16 v3, v4, v3
	v_pack_b32_f16 v4, v27, v26
	v_pack_b32_f16 v6, v8, v7
	global_store_dword v[17:18], v5, off
	v_pack_b32_f16 v5, v15, v9
	v_pack_b32_f16 v7, v25, v10
	;; [unrolled: 1-line block ×4, first 2 shown]
	global_store_dword v[19:20], v2, off
	global_store_dword v[21:22], v4, off
	;; [unrolled: 1-line block ×8, first 2 shown]
.LBB0_23:
	s_endpgm
	.section	.rodata,"a",@progbits
	.p2align	6, 0x0
	.amdhsa_kernel fft_rtc_back_len1404_factors_2_2_3_13_3_3_wgs_117_tpt_117_halfLds_half_ip_CI_sbrr_dirReg
		.amdhsa_group_segment_fixed_size 0
		.amdhsa_private_segment_fixed_size 0
		.amdhsa_kernarg_size 88
		.amdhsa_user_sgpr_count 6
		.amdhsa_user_sgpr_private_segment_buffer 1
		.amdhsa_user_sgpr_dispatch_ptr 0
		.amdhsa_user_sgpr_queue_ptr 0
		.amdhsa_user_sgpr_kernarg_segment_ptr 1
		.amdhsa_user_sgpr_dispatch_id 0
		.amdhsa_user_sgpr_flat_scratch_init 0
		.amdhsa_user_sgpr_private_segment_size 0
		.amdhsa_wavefront_size32 1
		.amdhsa_uses_dynamic_stack 0
		.amdhsa_system_sgpr_private_segment_wavefront_offset 0
		.amdhsa_system_sgpr_workgroup_id_x 1
		.amdhsa_system_sgpr_workgroup_id_y 0
		.amdhsa_system_sgpr_workgroup_id_z 0
		.amdhsa_system_sgpr_workgroup_info 0
		.amdhsa_system_vgpr_workitem_id 0
		.amdhsa_next_free_vgpr 91
		.amdhsa_next_free_sgpr 23
		.amdhsa_reserve_vcc 1
		.amdhsa_reserve_flat_scratch 0
		.amdhsa_float_round_mode_32 0
		.amdhsa_float_round_mode_16_64 0
		.amdhsa_float_denorm_mode_32 3
		.amdhsa_float_denorm_mode_16_64 3
		.amdhsa_dx10_clamp 1
		.amdhsa_ieee_mode 1
		.amdhsa_fp16_overflow 0
		.amdhsa_workgroup_processor_mode 1
		.amdhsa_memory_ordered 1
		.amdhsa_forward_progress 0
		.amdhsa_shared_vgpr_count 0
		.amdhsa_exception_fp_ieee_invalid_op 0
		.amdhsa_exception_fp_denorm_src 0
		.amdhsa_exception_fp_ieee_div_zero 0
		.amdhsa_exception_fp_ieee_overflow 0
		.amdhsa_exception_fp_ieee_underflow 0
		.amdhsa_exception_fp_ieee_inexact 0
		.amdhsa_exception_int_div_zero 0
	.end_amdhsa_kernel
	.text
.Lfunc_end0:
	.size	fft_rtc_back_len1404_factors_2_2_3_13_3_3_wgs_117_tpt_117_halfLds_half_ip_CI_sbrr_dirReg, .Lfunc_end0-fft_rtc_back_len1404_factors_2_2_3_13_3_3_wgs_117_tpt_117_halfLds_half_ip_CI_sbrr_dirReg
                                        ; -- End function
	.section	.AMDGPU.csdata,"",@progbits
; Kernel info:
; codeLenInByte = 11296
; NumSgprs: 25
; NumVgprs: 91
; ScratchSize: 0
; MemoryBound: 0
; FloatMode: 240
; IeeeMode: 1
; LDSByteSize: 0 bytes/workgroup (compile time only)
; SGPRBlocks: 3
; VGPRBlocks: 11
; NumSGPRsForWavesPerEU: 25
; NumVGPRsForWavesPerEU: 91
; Occupancy: 10
; WaveLimiterHint : 1
; COMPUTE_PGM_RSRC2:SCRATCH_EN: 0
; COMPUTE_PGM_RSRC2:USER_SGPR: 6
; COMPUTE_PGM_RSRC2:TRAP_HANDLER: 0
; COMPUTE_PGM_RSRC2:TGID_X_EN: 1
; COMPUTE_PGM_RSRC2:TGID_Y_EN: 0
; COMPUTE_PGM_RSRC2:TGID_Z_EN: 0
; COMPUTE_PGM_RSRC2:TIDIG_COMP_CNT: 0
	.text
	.p2alignl 6, 3214868480
	.fill 48, 4, 3214868480
	.type	__hip_cuid_627463d9447a73e6,@object ; @__hip_cuid_627463d9447a73e6
	.section	.bss,"aw",@nobits
	.globl	__hip_cuid_627463d9447a73e6
__hip_cuid_627463d9447a73e6:
	.byte	0                               ; 0x0
	.size	__hip_cuid_627463d9447a73e6, 1

	.ident	"AMD clang version 19.0.0git (https://github.com/RadeonOpenCompute/llvm-project roc-6.4.0 25133 c7fe45cf4b819c5991fe208aaa96edf142730f1d)"
	.section	".note.GNU-stack","",@progbits
	.addrsig
	.addrsig_sym __hip_cuid_627463d9447a73e6
	.amdgpu_metadata
---
amdhsa.kernels:
  - .args:
      - .actual_access:  read_only
        .address_space:  global
        .offset:         0
        .size:           8
        .value_kind:     global_buffer
      - .offset:         8
        .size:           8
        .value_kind:     by_value
      - .actual_access:  read_only
        .address_space:  global
        .offset:         16
        .size:           8
        .value_kind:     global_buffer
      - .actual_access:  read_only
        .address_space:  global
        .offset:         24
        .size:           8
        .value_kind:     global_buffer
      - .offset:         32
        .size:           8
        .value_kind:     by_value
      - .actual_access:  read_only
        .address_space:  global
        .offset:         40
        .size:           8
        .value_kind:     global_buffer
      - .actual_access:  read_only
        .address_space:  global
        .offset:         48
        .size:           8
        .value_kind:     global_buffer
      - .offset:         56
        .size:           4
        .value_kind:     by_value
      - .actual_access:  read_only
        .address_space:  global
        .offset:         64
        .size:           8
        .value_kind:     global_buffer
      - .actual_access:  read_only
        .address_space:  global
        .offset:         72
        .size:           8
        .value_kind:     global_buffer
      - .address_space:  global
        .offset:         80
        .size:           8
        .value_kind:     global_buffer
    .group_segment_fixed_size: 0
    .kernarg_segment_align: 8
    .kernarg_segment_size: 88
    .language:       OpenCL C
    .language_version:
      - 2
      - 0
    .max_flat_workgroup_size: 117
    .name:           fft_rtc_back_len1404_factors_2_2_3_13_3_3_wgs_117_tpt_117_halfLds_half_ip_CI_sbrr_dirReg
    .private_segment_fixed_size: 0
    .sgpr_count:     25
    .sgpr_spill_count: 0
    .symbol:         fft_rtc_back_len1404_factors_2_2_3_13_3_3_wgs_117_tpt_117_halfLds_half_ip_CI_sbrr_dirReg.kd
    .uniform_work_group_size: 1
    .uses_dynamic_stack: false
    .vgpr_count:     91
    .vgpr_spill_count: 0
    .wavefront_size: 32
    .workgroup_processor_mode: 1
amdhsa.target:   amdgcn-amd-amdhsa--gfx1030
amdhsa.version:
  - 1
  - 2
...

	.end_amdgpu_metadata
